;; amdgpu-corpus repo=ROCm/rocFFT kind=compiled arch=gfx1201 opt=O3
	.text
	.amdgcn_target "amdgcn-amd-amdhsa--gfx1201"
	.amdhsa_code_object_version 6
	.protected	fft_rtc_back_len650_factors_10_5_13_wgs_195_tpt_65_half_op_CI_CI_unitstride_sbrr_R2C_dirReg ; -- Begin function fft_rtc_back_len650_factors_10_5_13_wgs_195_tpt_65_half_op_CI_CI_unitstride_sbrr_R2C_dirReg
	.globl	fft_rtc_back_len650_factors_10_5_13_wgs_195_tpt_65_half_op_CI_CI_unitstride_sbrr_R2C_dirReg
	.p2align	8
	.type	fft_rtc_back_len650_factors_10_5_13_wgs_195_tpt_65_half_op_CI_CI_unitstride_sbrr_R2C_dirReg,@function
fft_rtc_back_len650_factors_10_5_13_wgs_195_tpt_65_half_op_CI_CI_unitstride_sbrr_R2C_dirReg: ; @fft_rtc_back_len650_factors_10_5_13_wgs_195_tpt_65_half_op_CI_CI_unitstride_sbrr_R2C_dirReg
; %bb.0:
	s_load_b128 s[8:11], s[0:1], 0x0
	v_mul_u32_u24_e32 v1, 0x3f1, v0
	s_clause 0x1
	s_load_b128 s[4:7], s[0:1], 0x58
	s_load_b128 s[12:15], s[0:1], 0x18
	v_mov_b32_e32 v10, 0
	v_lshrrev_b32_e32 v1, 16, v1
	s_delay_alu instid0(VALU_DEP_1) | instskip(SKIP_1) | instid1(VALU_DEP_4)
	v_mad_co_u64_u32 v[3:4], null, ttmp9, 3, v[1:2]
	v_mov_b32_e32 v8, 0
	v_dual_mov_b32 v9, 0 :: v_dual_mov_b32 v4, v10
	s_delay_alu instid0(VALU_DEP_1) | instskip(SKIP_2) | instid1(VALU_DEP_3)
	v_dual_mov_b32 v1, v8 :: v_dual_mov_b32 v2, v9
	s_wait_kmcnt 0x0
	v_cmp_lt_u64_e64 s2, s[10:11], 2
	v_dual_mov_b32 v6, v4 :: v_dual_mov_b32 v5, v3
	s_delay_alu instid0(VALU_DEP_2)
	s_and_b32 vcc_lo, exec_lo, s2
	s_cbranch_vccnz .LBB0_8
; %bb.1:
	s_load_b64 s[2:3], s[0:1], 0x10
	v_dual_mov_b32 v8, 0 :: v_dual_mov_b32 v13, v4
	v_dual_mov_b32 v9, 0 :: v_dual_mov_b32 v12, v3
	s_delay_alu instid0(VALU_DEP_2) | instskip(SKIP_2) | instid1(VALU_DEP_2)
	v_mov_b32_e32 v1, v8
	s_add_nc_u64 s[16:17], s[14:15], 8
	s_add_nc_u64 s[18:19], s[12:13], 8
	v_mov_b32_e32 v2, v9
	s_mov_b64 s[20:21], 1
	s_wait_kmcnt 0x0
	s_add_nc_u64 s[22:23], s[2:3], 8
	s_mov_b32 s3, 0
.LBB0_2:                                ; =>This Inner Loop Header: Depth=1
	s_load_b64 s[24:25], s[22:23], 0x0
                                        ; implicit-def: $vgpr5_vgpr6
	s_mov_b32 s2, exec_lo
	s_wait_kmcnt 0x0
	v_or_b32_e32 v11, s25, v13
	s_delay_alu instid0(VALU_DEP_1)
	v_cmpx_ne_u64_e32 0, v[10:11]
	s_wait_alu 0xfffe
	s_xor_b32 s26, exec_lo, s2
	s_cbranch_execz .LBB0_4
; %bb.3:                                ;   in Loop: Header=BB0_2 Depth=1
	s_cvt_f32_u32 s2, s24
	s_cvt_f32_u32 s27, s25
	s_sub_nc_u64 s[30:31], 0, s[24:25]
	s_wait_alu 0xfffe
	s_delay_alu instid0(SALU_CYCLE_1) | instskip(SKIP_1) | instid1(SALU_CYCLE_2)
	s_fmamk_f32 s2, s27, 0x4f800000, s2
	s_wait_alu 0xfffe
	v_s_rcp_f32 s2, s2
	s_delay_alu instid0(TRANS32_DEP_1) | instskip(SKIP_1) | instid1(SALU_CYCLE_2)
	s_mul_f32 s2, s2, 0x5f7ffffc
	s_wait_alu 0xfffe
	s_mul_f32 s27, s2, 0x2f800000
	s_wait_alu 0xfffe
	s_delay_alu instid0(SALU_CYCLE_2) | instskip(SKIP_1) | instid1(SALU_CYCLE_2)
	s_trunc_f32 s27, s27
	s_wait_alu 0xfffe
	s_fmamk_f32 s2, s27, 0xcf800000, s2
	s_cvt_u32_f32 s29, s27
	s_wait_alu 0xfffe
	s_delay_alu instid0(SALU_CYCLE_1) | instskip(SKIP_1) | instid1(SALU_CYCLE_2)
	s_cvt_u32_f32 s28, s2
	s_wait_alu 0xfffe
	s_mul_u64 s[34:35], s[30:31], s[28:29]
	s_wait_alu 0xfffe
	s_mul_hi_u32 s37, s28, s35
	s_mul_i32 s36, s28, s35
	s_mul_hi_u32 s2, s28, s34
	s_mul_i32 s33, s29, s34
	s_wait_alu 0xfffe
	s_add_nc_u64 s[36:37], s[2:3], s[36:37]
	s_mul_hi_u32 s27, s29, s34
	s_mul_hi_u32 s38, s29, s35
	s_add_co_u32 s2, s36, s33
	s_wait_alu 0xfffe
	s_add_co_ci_u32 s2, s37, s27
	s_mul_i32 s34, s29, s35
	s_add_co_ci_u32 s35, s38, 0
	s_wait_alu 0xfffe
	s_add_nc_u64 s[34:35], s[2:3], s[34:35]
	s_wait_alu 0xfffe
	v_add_co_u32 v4, s2, s28, s34
	s_delay_alu instid0(VALU_DEP_1) | instskip(SKIP_1) | instid1(VALU_DEP_1)
	s_cmp_lg_u32 s2, 0
	s_add_co_ci_u32 s29, s29, s35
	v_readfirstlane_b32 s28, v4
	s_wait_alu 0xfffe
	s_delay_alu instid0(VALU_DEP_1)
	s_mul_u64 s[30:31], s[30:31], s[28:29]
	s_wait_alu 0xfffe
	s_mul_hi_u32 s35, s28, s31
	s_mul_i32 s34, s28, s31
	s_mul_hi_u32 s2, s28, s30
	s_mul_i32 s33, s29, s30
	s_wait_alu 0xfffe
	s_add_nc_u64 s[34:35], s[2:3], s[34:35]
	s_mul_hi_u32 s27, s29, s30
	s_mul_hi_u32 s28, s29, s31
	s_wait_alu 0xfffe
	s_add_co_u32 s2, s34, s33
	s_add_co_ci_u32 s2, s35, s27
	s_mul_i32 s30, s29, s31
	s_add_co_ci_u32 s31, s28, 0
	s_wait_alu 0xfffe
	s_add_nc_u64 s[30:31], s[2:3], s[30:31]
	s_wait_alu 0xfffe
	v_add_co_u32 v6, s2, v4, s30
	s_delay_alu instid0(VALU_DEP_1) | instskip(SKIP_1) | instid1(VALU_DEP_1)
	s_cmp_lg_u32 s2, 0
	s_add_co_ci_u32 s2, s29, s31
	v_mul_hi_u32 v11, v12, v6
	s_wait_alu 0xfffe
	v_mad_co_u64_u32 v[4:5], null, v12, s2, 0
	v_mad_co_u64_u32 v[6:7], null, v13, v6, 0
	;; [unrolled: 1-line block ×3, first 2 shown]
	s_delay_alu instid0(VALU_DEP_3) | instskip(SKIP_1) | instid1(VALU_DEP_4)
	v_add_co_u32 v4, vcc_lo, v11, v4
	s_wait_alu 0xfffd
	v_add_co_ci_u32_e32 v5, vcc_lo, 0, v5, vcc_lo
	s_delay_alu instid0(VALU_DEP_2) | instskip(SKIP_1) | instid1(VALU_DEP_2)
	v_add_co_u32 v4, vcc_lo, v4, v6
	s_wait_alu 0xfffd
	v_add_co_ci_u32_e32 v4, vcc_lo, v5, v7, vcc_lo
	s_wait_alu 0xfffd
	v_add_co_ci_u32_e32 v5, vcc_lo, 0, v15, vcc_lo
	s_delay_alu instid0(VALU_DEP_2) | instskip(SKIP_1) | instid1(VALU_DEP_2)
	v_add_co_u32 v7, vcc_lo, v4, v14
	s_wait_alu 0xfffd
	v_add_co_ci_u32_e32 v6, vcc_lo, 0, v5, vcc_lo
	s_delay_alu instid0(VALU_DEP_2) | instskip(SKIP_1) | instid1(VALU_DEP_3)
	v_mul_lo_u32 v11, s25, v7
	v_mad_co_u64_u32 v[4:5], null, s24, v7, 0
	v_mul_lo_u32 v14, s24, v6
	s_delay_alu instid0(VALU_DEP_2) | instskip(NEXT) | instid1(VALU_DEP_2)
	v_sub_co_u32 v4, vcc_lo, v12, v4
	v_add3_u32 v5, v5, v14, v11
	s_delay_alu instid0(VALU_DEP_1) | instskip(SKIP_1) | instid1(VALU_DEP_1)
	v_sub_nc_u32_e32 v11, v13, v5
	s_wait_alu 0xfffd
	v_subrev_co_ci_u32_e64 v11, s2, s25, v11, vcc_lo
	v_add_co_u32 v14, s2, v7, 2
	s_wait_alu 0xf1ff
	v_add_co_ci_u32_e64 v15, s2, 0, v6, s2
	v_sub_co_u32 v16, s2, v4, s24
	v_sub_co_ci_u32_e32 v5, vcc_lo, v13, v5, vcc_lo
	s_wait_alu 0xf1ff
	v_subrev_co_ci_u32_e64 v11, s2, 0, v11, s2
	s_delay_alu instid0(VALU_DEP_3) | instskip(NEXT) | instid1(VALU_DEP_3)
	v_cmp_le_u32_e32 vcc_lo, s24, v16
	v_cmp_eq_u32_e64 s2, s25, v5
	s_wait_alu 0xfffd
	v_cndmask_b32_e64 v16, 0, -1, vcc_lo
	v_cmp_le_u32_e32 vcc_lo, s25, v11
	s_wait_alu 0xfffd
	v_cndmask_b32_e64 v17, 0, -1, vcc_lo
	v_cmp_le_u32_e32 vcc_lo, s24, v4
	;; [unrolled: 3-line block ×3, first 2 shown]
	s_wait_alu 0xfffd
	v_cndmask_b32_e64 v18, 0, -1, vcc_lo
	v_cmp_eq_u32_e32 vcc_lo, s25, v11
	s_wait_alu 0xf1ff
	s_delay_alu instid0(VALU_DEP_2)
	v_cndmask_b32_e64 v4, v18, v4, s2
	s_wait_alu 0xfffd
	v_cndmask_b32_e32 v11, v17, v16, vcc_lo
	v_add_co_u32 v16, vcc_lo, v7, 1
	s_wait_alu 0xfffd
	v_add_co_ci_u32_e32 v17, vcc_lo, 0, v6, vcc_lo
	s_delay_alu instid0(VALU_DEP_3) | instskip(SKIP_1) | instid1(VALU_DEP_2)
	v_cmp_ne_u32_e32 vcc_lo, 0, v11
	s_wait_alu 0xfffd
	v_cndmask_b32_e32 v5, v17, v15, vcc_lo
	v_cndmask_b32_e32 v11, v16, v14, vcc_lo
	v_cmp_ne_u32_e32 vcc_lo, 0, v4
	s_wait_alu 0xfffd
	s_delay_alu instid0(VALU_DEP_2)
	v_dual_cndmask_b32 v6, v6, v5 :: v_dual_cndmask_b32 v5, v7, v11
.LBB0_4:                                ;   in Loop: Header=BB0_2 Depth=1
	s_wait_alu 0xfffe
	s_and_not1_saveexec_b32 s2, s26
	s_cbranch_execz .LBB0_6
; %bb.5:                                ;   in Loop: Header=BB0_2 Depth=1
	v_cvt_f32_u32_e32 v4, s24
	s_sub_co_i32 s26, 0, s24
	s_delay_alu instid0(VALU_DEP_1) | instskip(NEXT) | instid1(TRANS32_DEP_1)
	v_rcp_iflag_f32_e32 v4, v4
	v_mul_f32_e32 v4, 0x4f7ffffe, v4
	s_delay_alu instid0(VALU_DEP_1) | instskip(SKIP_1) | instid1(VALU_DEP_1)
	v_cvt_u32_f32_e32 v4, v4
	s_wait_alu 0xfffe
	v_mul_lo_u32 v5, s26, v4
	s_delay_alu instid0(VALU_DEP_1) | instskip(NEXT) | instid1(VALU_DEP_1)
	v_mul_hi_u32 v5, v4, v5
	v_add_nc_u32_e32 v4, v4, v5
	s_delay_alu instid0(VALU_DEP_1) | instskip(NEXT) | instid1(VALU_DEP_1)
	v_mul_hi_u32 v4, v12, v4
	v_mul_lo_u32 v5, v4, s24
	v_add_nc_u32_e32 v6, 1, v4
	s_delay_alu instid0(VALU_DEP_2) | instskip(NEXT) | instid1(VALU_DEP_1)
	v_sub_nc_u32_e32 v5, v12, v5
	v_subrev_nc_u32_e32 v7, s24, v5
	v_cmp_le_u32_e32 vcc_lo, s24, v5
	s_wait_alu 0xfffd
	s_delay_alu instid0(VALU_DEP_2) | instskip(NEXT) | instid1(VALU_DEP_1)
	v_dual_cndmask_b32 v5, v5, v7 :: v_dual_cndmask_b32 v4, v4, v6
	v_cmp_le_u32_e32 vcc_lo, s24, v5
	s_delay_alu instid0(VALU_DEP_2) | instskip(SKIP_1) | instid1(VALU_DEP_1)
	v_add_nc_u32_e32 v6, 1, v4
	s_wait_alu 0xfffd
	v_dual_cndmask_b32 v5, v4, v6 :: v_dual_mov_b32 v6, v10
.LBB0_6:                                ;   in Loop: Header=BB0_2 Depth=1
	s_wait_alu 0xfffe
	s_or_b32 exec_lo, exec_lo, s2
	s_delay_alu instid0(VALU_DEP_1) | instskip(NEXT) | instid1(VALU_DEP_2)
	v_mul_lo_u32 v4, v6, s24
	v_mul_lo_u32 v7, v5, s25
	s_load_b64 s[26:27], s[18:19], 0x0
	v_mad_co_u64_u32 v[14:15], null, v5, s24, 0
	s_load_b64 s[24:25], s[16:17], 0x0
	s_add_nc_u64 s[20:21], s[20:21], 1
	s_add_nc_u64 s[16:17], s[16:17], 8
	s_wait_alu 0xfffe
	v_cmp_ge_u64_e64 s2, s[20:21], s[10:11]
	s_add_nc_u64 s[18:19], s[18:19], 8
	s_add_nc_u64 s[22:23], s[22:23], 8
	v_add3_u32 v4, v15, v7, v4
	v_sub_co_u32 v7, vcc_lo, v12, v14
	s_wait_alu 0xfffd
	s_delay_alu instid0(VALU_DEP_2) | instskip(SKIP_2) | instid1(VALU_DEP_1)
	v_sub_co_ci_u32_e32 v4, vcc_lo, v13, v4, vcc_lo
	s_and_b32 vcc_lo, exec_lo, s2
	s_wait_kmcnt 0x0
	v_mul_lo_u32 v11, s26, v4
	v_mul_lo_u32 v12, s27, v7
	v_mad_co_u64_u32 v[8:9], null, s26, v7, v[8:9]
	v_mul_lo_u32 v4, s24, v4
	v_mul_lo_u32 v13, s25, v7
	v_mad_co_u64_u32 v[1:2], null, s24, v7, v[1:2]
	s_delay_alu instid0(VALU_DEP_4) | instskip(NEXT) | instid1(VALU_DEP_2)
	v_add3_u32 v9, v12, v9, v11
	v_add3_u32 v2, v13, v2, v4
	s_wait_alu 0xfffe
	s_cbranch_vccnz .LBB0_8
; %bb.7:                                ;   in Loop: Header=BB0_2 Depth=1
	v_dual_mov_b32 v13, v6 :: v_dual_mov_b32 v12, v5
	s_branch .LBB0_2
.LBB0_8:
	s_load_b64 s[0:1], s[0:1], 0x28
	v_mul_hi_u32 v4, 0xaaaaaaab, v3
	s_lshl_b64 s[10:11], s[10:11], 3
	s_delay_alu instid0(VALU_DEP_1) | instskip(NEXT) | instid1(VALU_DEP_1)
	v_lshrrev_b32_e32 v4, 1, v4
	v_lshl_add_u32 v7, v4, 1, v4
	v_mul_hi_u32 v4, 0x3f03f04, v0
	s_delay_alu instid0(VALU_DEP_2) | instskip(SKIP_3) | instid1(VALU_DEP_1)
	v_sub_nc_u32_e32 v10, v3, v7
	s_wait_kmcnt 0x0
	v_cmp_gt_u64_e32 vcc_lo, s[0:1], v[5:6]
	v_cmp_le_u64_e64 s0, s[0:1], v[5:6]
                                        ; implicit-def: $vgpr3
                                        ; implicit-def: $vgpr7
	s_and_saveexec_b32 s1, s0
	s_wait_alu 0xfffe
	s_xor_b32 s0, exec_lo, s1
; %bb.9:
	v_mul_u32_u24_e32 v3, 0x41, v4
                                        ; implicit-def: $vgpr4
                                        ; implicit-def: $vgpr8_vgpr9
	s_delay_alu instid0(VALU_DEP_1) | instskip(NEXT) | instid1(VALU_DEP_1)
	v_sub_nc_u32_e32 v3, v0, v3
                                        ; implicit-def: $vgpr0
	v_add_nc_u32_e32 v7, 0x41, v3
; %bb.10:
	s_wait_alu 0xfffe
	s_or_saveexec_b32 s1, s0
	v_mul_u32_u24_e32 v10, 0x28b, v10
	s_add_nc_u64 s[2:3], s[14:15], s[10:11]
	s_delay_alu instid0(VALU_DEP_1)
	v_lshlrev_b32_e32 v11, 2, v10
	s_wait_alu 0xfffe
	s_xor_b32 exec_lo, exec_lo, s1
	s_cbranch_execz .LBB0_12
; %bb.11:
	s_add_nc_u64 s[10:11], s[12:13], s[10:11]
	s_load_b64 s[10:11], s[10:11], 0x0
	s_wait_kmcnt 0x0
	v_mul_lo_u32 v3, s11, v5
	v_mul_lo_u32 v7, s10, v6
	v_mad_co_u64_u32 v[12:13], null, s10, v5, 0
	s_delay_alu instid0(VALU_DEP_1) | instskip(SKIP_2) | instid1(VALU_DEP_3)
	v_add3_u32 v13, v13, v7, v3
	v_mul_u32_u24_e32 v3, 0x41, v4
	v_lshlrev_b64_e32 v[7:8], 2, v[8:9]
	v_lshlrev_b64_e32 v[12:13], 2, v[12:13]
	s_delay_alu instid0(VALU_DEP_3) | instskip(NEXT) | instid1(VALU_DEP_1)
	v_sub_nc_u32_e32 v3, v0, v3
	v_lshlrev_b32_e32 v9, 2, v3
	s_delay_alu instid0(VALU_DEP_3) | instskip(SKIP_1) | instid1(VALU_DEP_4)
	v_add_co_u32 v0, s0, s4, v12
	s_wait_alu 0xf1ff
	v_add_co_ci_u32_e64 v4, s0, s5, v13, s0
	s_delay_alu instid0(VALU_DEP_2) | instskip(SKIP_1) | instid1(VALU_DEP_2)
	v_add_co_u32 v0, s0, v0, v7
	s_wait_alu 0xf1ff
	v_add_co_ci_u32_e64 v4, s0, v4, v8, s0
	s_delay_alu instid0(VALU_DEP_2) | instskip(SKIP_1) | instid1(VALU_DEP_2)
	v_add_co_u32 v7, s0, v0, v9
	s_wait_alu 0xf1ff
	v_add_co_ci_u32_e64 v8, s0, 0, v4, s0
	s_clause 0x9
	global_load_b32 v0, v[7:8], off
	global_load_b32 v4, v[7:8], off offset:260
	global_load_b32 v10, v[7:8], off offset:520
	;; [unrolled: 1-line block ×9, first 2 shown]
	v_add3_u32 v9, 0, v11, v9
	v_add_nc_u32_e32 v7, 0x41, v3
	s_delay_alu instid0(VALU_DEP_2)
	v_add_nc_u32_e32 v18, 0x400, v9
	v_add_nc_u32_e32 v19, 0x800, v9
	s_wait_loadcnt 0x8
	ds_store_2addr_b32 v9, v0, v4 offset1:65
	s_wait_loadcnt 0x6
	ds_store_2addr_b32 v9, v10, v12 offset0:130 offset1:195
	s_wait_loadcnt 0x4
	ds_store_2addr_b32 v18, v13, v14 offset0:4 offset1:69
	;; [unrolled: 2-line block ×4, first 2 shown]
.LBB0_12:
	s_or_b32 exec_lo, exec_lo, s1
	v_lshlrev_b32_e32 v4, 2, v3
	v_add_nc_u32_e32 v0, 0, v11
	s_load_b64 s[2:3], s[2:3], 0x0
	global_wb scope:SCOPE_SE
	s_wait_dscnt 0x0
	s_wait_kmcnt 0x0
	s_barrier_signal -1
	v_add3_u32 v21, 0, v4, v11
	v_add_nc_u32_e32 v20, v0, v4
	s_barrier_wait -1
	global_inv scope:SCOPE_SE
	v_cmp_gt_u32_e64 s0, 50, v3
	v_add_nc_u32_e32 v25, 0x200, v21
	v_add_nc_u32_e32 v13, 0x400, v21
	;; [unrolled: 1-line block ×3, first 2 shown]
	ds_load_2addr_b32 v[8:9], v21 offset0:65 offset1:130
	ds_load_b32 v12, v20
	ds_load_2addr_b32 v[14:15], v25 offset0:67 offset1:132
	ds_load_2addr_b32 v[16:17], v13 offset0:69 offset1:134
	;; [unrolled: 1-line block ×3, first 2 shown]
	ds_load_b32 v22, v21 offset:2340
	v_mad_u32_u24 v10, v3, 36, v21
	global_wb scope:SCOPE_SE
	s_wait_dscnt 0x0
	s_barrier_signal -1
	s_barrier_wait -1
	global_inv scope:SCOPE_SE
	v_lshrrev_b32_e32 v23, 16, v9
	v_pk_add_f16 v24, v12, v9
	v_lshrrev_b32_e32 v29, 16, v15
	v_add_f16_e32 v27, v15, v17
	v_lshrrev_b32_e32 v28, 16, v19
	v_lshrrev_b32_e32 v30, 16, v17
	v_add_f16_e32 v33, v9, v19
	v_lshrrev_b32_e32 v26, 16, v12
	v_fma_f16 v27, -0.5, v27, v12
	v_sub_f16_e32 v36, v23, v28
	v_sub_f16_e32 v37, v29, v30
	v_fma_f16 v12, -0.5, v33, v12
	v_add_f16_e32 v33, v29, v30
	v_sub_f16_e32 v31, v19, v17
	v_sub_f16_e32 v32, v9, v15
	;; [unrolled: 1-line block ×5, first 2 shown]
	v_fmamk_f16 v38, v36, 0xbb9c, v27
	v_fmac_f16_e32 v27, 0x3b9c, v36
	v_fmamk_f16 v39, v37, 0x3b9c, v12
	v_fmac_f16_e32 v12, 0xbb9c, v37
	v_fma_f16 v33, -0.5, v33, v26
	v_pk_add_f16 v24, v24, v15
	v_sub_f16_e32 v15, v15, v17
	v_add_f16_e32 v31, v32, v31
	v_add_f16_e32 v32, v35, v34
	v_sub_f16_e32 v34, v23, v29
	v_sub_f16_e32 v35, v28, v30
	v_fmac_f16_e32 v38, 0xb8b4, v37
	v_fmac_f16_e32 v27, 0x38b4, v37
	;; [unrolled: 1-line block ×4, first 2 shown]
	v_fmamk_f16 v36, v9, 0x3b9c, v33
	v_fmac_f16_e32 v33, 0xbb9c, v9
	v_fmac_f16_e32 v38, 0x34f2, v31
	;; [unrolled: 1-line block ×3, first 2 shown]
	v_pk_add_f16 v17, v24, v17
	v_fmac_f16_e32 v36, 0x38b4, v15
	v_add_f16_e32 v24, v34, v35
	v_add_f16_e32 v31, v23, v28
	v_fmac_f16_e32 v33, 0xb8b4, v15
	v_pk_add_f16 v17, v17, v19
	v_add_f16_e32 v19, v16, v18
	v_fmac_f16_e32 v36, 0x34f2, v24
	v_fmac_f16_e32 v26, -0.5, v31
	v_fmac_f16_e32 v33, 0x34f2, v24
	v_lshrrev_b32_e32 v24, 16, v14
	v_lshrrev_b32_e32 v31, 16, v22
	v_sub_f16_e32 v23, v29, v23
	v_sub_f16_e32 v28, v30, v28
	v_fma_f16 v19, -0.5, v19, v8
	v_lshrrev_b32_e32 v30, 16, v16
	v_sub_f16_e32 v29, v24, v31
	v_lshrrev_b32_e32 v34, 16, v18
	v_fmac_f16_e32 v39, 0x34f2, v32
	v_fmac_f16_e32 v12, 0x34f2, v32
	v_fmamk_f16 v32, v15, 0xbb9c, v26
	v_add_f16_e32 v23, v23, v28
	v_fmac_f16_e32 v26, 0x3b9c, v15
	v_fmamk_f16 v15, v29, 0xbb9c, v19
	v_sub_f16_e32 v28, v30, v34
	v_sub_f16_e32 v35, v22, v18
	;; [unrolled: 1-line block ×3, first 2 shown]
	v_fmac_f16_e32 v19, 0x3b9c, v29
	v_add_f16_e32 v40, v14, v22
	v_fmac_f16_e32 v32, 0x38b4, v9
	v_fmac_f16_e32 v26, 0xb8b4, v9
	;; [unrolled: 1-line block ×3, first 2 shown]
	v_add_f16_e32 v9, v37, v35
	v_fmac_f16_e32 v19, 0x38b4, v28
	v_fma_f16 v35, -0.5, v40, v8
	v_lshrrev_b32_e32 v40, 16, v8
	v_fmac_f16_e32 v32, 0x34f2, v23
	v_fmac_f16_e32 v15, 0x34f2, v9
	;; [unrolled: 1-line block ×3, first 2 shown]
	v_fmamk_f16 v9, v28, 0x3b9c, v35
	v_fmac_f16_e32 v35, 0xbb9c, v28
	v_add_f16_e32 v28, v30, v34
	v_fmac_f16_e32 v26, 0x34f2, v23
	v_sub_f16_e32 v23, v18, v22
	v_fmac_f16_e32 v9, 0xb8b4, v29
	v_fmac_f16_e32 v35, 0x38b4, v29
	v_add_f16_e32 v29, v24, v31
	v_sub_f16_e32 v37, v16, v14
	v_fma_f16 v28, -0.5, v28, v40
	v_sub_f16_e32 v41, v16, v18
	v_sub_f16_e32 v42, v31, v34
	v_fmac_f16_e32 v40, -0.5, v29
	v_add_f16_e32 v23, v37, v23
	v_sub_f16_e32 v37, v14, v22
	v_sub_f16_e32 v29, v24, v30
	;; [unrolled: 1-line block ×3, first 2 shown]
	v_fmamk_f16 v43, v41, 0xbb9c, v40
	v_sub_f16_e32 v30, v34, v31
	v_fmac_f16_e32 v40, 0x3b9c, v41
	v_fmac_f16_e32 v9, 0x34f2, v23
	;; [unrolled: 1-line block ×3, first 2 shown]
	v_fmamk_f16 v23, v37, 0x3b9c, v28
	v_add_f16_e32 v24, v24, v30
	v_fmac_f16_e32 v40, 0xb8b4, v37
	v_fmac_f16_e32 v28, 0xbb9c, v37
	v_add_f16_e32 v29, v29, v42
	v_fmac_f16_e32 v23, 0x38b4, v41
	v_fmac_f16_e32 v43, 0x38b4, v37
	v_pk_add_f16 v8, v8, v14
	v_fmac_f16_e32 v40, 0x34f2, v24
	v_fmac_f16_e32 v28, 0xb8b4, v41
	;; [unrolled: 1-line block ×4, first 2 shown]
	v_pk_add_f16 v8, v8, v16
	v_mul_f16_e32 v24, 0xbb9c, v40
	v_fmac_f16_e32 v28, 0x34f2, v29
	v_mul_f16_e32 v14, 0xb8b4, v23
	v_mul_f16_e32 v31, 0x34f2, v43
	v_pk_add_f16 v8, v8, v18
	v_fmac_f16_e32 v24, 0xb4f2, v35
	v_mul_f16_e32 v18, 0xb8b4, v28
	v_mul_f16_e32 v16, 0xbb9c, v43
	v_fmac_f16_e32 v14, 0x3a79, v15
	v_mul_f16_e32 v15, 0x38b4, v15
	v_add_f16_e32 v30, v12, v24
	v_fmac_f16_e32 v18, 0xba79, v19
	v_mul_f16_e32 v34, 0xb4f2, v40
	v_fmac_f16_e32 v31, 0x3b9c, v9
	v_sub_f16_e32 v12, v12, v24
	v_and_b32_e32 v24, 0xff, v3
	v_fmac_f16_e32 v16, 0x34f2, v9
	v_mul_f16_e32 v28, 0xba79, v28
	v_add_f16_e32 v37, v27, v18
	v_fmac_f16_e32 v15, 0x3a79, v23
	v_fmac_f16_e32 v34, 0x3b9c, v35
	v_add_f16_e32 v23, v32, v31
	v_sub_f16_e32 v18, v27, v18
	v_sub_f16_e32 v27, v32, v31
	v_mul_lo_u16 v24, 0xcd, v24
	v_and_b32_e32 v31, 0xff, v7
	v_pk_add_f16 v8, v8, v22
	v_add_f16_e32 v22, v38, v14
	v_add_f16_e32 v29, v39, v16
	v_fmac_f16_e32 v28, 0x38b4, v19
	v_add_f16_e32 v19, v36, v15
	v_add_f16_e32 v35, v26, v34
	v_lshrrev_b16 v24, 11, v24
	v_mul_lo_u16 v31, 0xcd, v31
	v_sub_f16_e32 v16, v39, v16
	v_pack_b32_f16 v19, v22, v19
	v_pack_b32_f16 v22, v30, v35
	;; [unrolled: 1-line block ×3, first 2 shown]
	v_mul_lo_u16 v29, v24, 10
	v_lshrrev_b16 v30, 11, v31
	v_add_f16_e32 v40, v33, v28
	v_sub_f16_e32 v14, v38, v14
	v_sub_f16_e32 v15, v36, v15
	;; [unrolled: 1-line block ×3, first 2 shown]
	v_pack_b32_f16 v16, v16, v27
	v_sub_nc_u16 v27, v3, v29
	v_mul_lo_u16 v29, v30, 10
	v_sub_f16_e32 v26, v26, v34
	v_pk_add_f16 v9, v17, v8
	v_pack_b32_f16 v14, v14, v15
	v_pack_b32_f16 v15, v18, v28
	v_sub_nc_u16 v18, v7, v29
	v_pk_add_f16 v8, v17, v8 neg_lo:[0,1] neg_hi:[0,1]
	v_pack_b32_f16 v17, v37, v40
	v_pack_b32_f16 v12, v12, v26
	v_and_b32_e32 v31, 0xff, v27
	ds_store_2addr_b32 v10, v9, v19 offset1:1
	ds_store_2addr_b32 v10, v23, v22 offset0:2 offset1:3
	ds_store_2addr_b32 v10, v17, v8 offset0:4 offset1:5
	;; [unrolled: 1-line block ×4, first 2 shown]
	v_and_b32_e32 v8, 0xff, v18
	global_wb scope:SCOPE_SE
	s_wait_dscnt 0x0
	s_barrier_signal -1
	v_lshlrev_b32_e32 v9, 4, v31
	s_barrier_wait -1
	v_lshlrev_b32_e32 v10, 4, v8
	global_inv scope:SCOPE_SE
	s_clause 0x1
	global_load_b128 v[14:17], v9, s[8:9]
	global_load_b128 v[26:29], v10, s[8:9]
	v_lshl_add_u32 v22, v7, 2, v0
	v_and_b32_e32 v19, 0xffff, v30
	v_add_nc_u32_e32 v18, 0x800, v21
	v_and_b32_e32 v12, 0xffff, v24
	ds_load_b32 v10, v20
	ds_load_b32 v9, v22
	ds_load_2addr_b32 v[23:24], v13 offset0:4 offset1:69
	ds_load_2addr_b32 v[34:35], v13 offset0:134 offset1:199
	ds_load_2addr_b32 v[36:37], v18 offset0:8 offset1:73
	ds_load_2addr_b32 v[38:39], v21 offset0:130 offset1:195
	v_lshlrev_b32_e32 v8, 2, v8
	v_mad_u32_u24 v19, 0xc8, v19, 0
	v_lshlrev_b32_e32 v30, 2, v31
	v_mad_u32_u24 v12, 0xc8, v12, 0
	s_delay_alu instid0(VALU_DEP_3)
	v_add3_u32 v19, v19, v8, v11
	ds_load_u16 v8, v21 offset:782
	v_add3_u32 v32, v12, v30, v11
	global_wb scope:SCOPE_SE
	s_wait_loadcnt_dscnt 0x0
	s_barrier_signal -1
	s_barrier_wait -1
	global_inv scope:SCOPE_SE
	v_lshrrev_b32_e32 v31, 16, v10
	v_lshrrev_b32_e32 v33, 16, v9
	;; [unrolled: 1-line block ×17, first 2 shown]
	v_mul_f16_e32 v52, v44, v40
	v_mul_f16_e32 v44, v44, v38
	;; [unrolled: 1-line block ×16, first 2 shown]
	v_fmac_f16_e32 v52, v14, v38
	v_fma_f16 v14, v14, v40, -v44
	v_fmac_f16_e32 v53, v15, v23
	v_fma_f16 v15, v15, v41, -v45
	;; [unrolled: 2-line block ×4, first 2 shown]
	v_fma_f16 v8, v8, v26, -v48
	v_fmac_f16_e32 v57, v24, v27
	v_fma_f16 v16, v11, v27, -v49
	v_fmac_f16_e32 v58, v35, v28
	;; [unrolled: 2-line block ×3, first 2 shown]
	v_fmac_f16_e32 v59, v37, v29
	v_fma_f16 v26, v30, v29, -v51
	v_add_f16_e32 v11, v10, v52
	v_add_f16_e32 v12, v53, v54
	;; [unrolled: 1-line block ×6, first 2 shown]
	v_sub_f16_e32 v34, v53, v52
	v_sub_f16_e32 v35, v54, v55
	;; [unrolled: 1-line block ×4, first 2 shown]
	v_add_f16_e32 v46, v57, v58
	v_add_f16_e32 v61, v33, v8
	;; [unrolled: 1-line block ×5, first 2 shown]
	v_sub_f16_e32 v27, v14, v38
	v_sub_f16_e32 v28, v15, v23
	;; [unrolled: 1-line block ×6, first 2 shown]
	v_add_f16_e32 v53, v11, v53
	v_fma_f16 v11, -0.5, v12, v10
	v_add_f16_e32 v15, v36, v15
	v_fma_f16 v36, -0.5, v37, v31
	v_sub_f16_e32 v29, v55, v54
	v_fmac_f16_e32 v10, -0.5, v30
	v_fmac_f16_e32 v31, -0.5, v43
	v_sub_f16_e32 v44, v23, v38
	v_add_f16_e32 v45, v9, v56
	v_sub_f16_e32 v47, v8, v26
	v_sub_f16_e32 v49, v56, v57
	;; [unrolled: 1-line block ×5, first 2 shown]
	v_add_f16_e32 v35, v34, v35
	v_add_f16_e32 v68, v39, v40
	v_fma_f16 v12, -0.5, v46, v9
	v_add_f16_e32 v39, v61, v16
	v_fma_f16 v34, -0.5, v62, v33
	v_sub_f16_e32 v48, v16, v24
	v_sub_f16_e32 v50, v59, v58
	;; [unrolled: 1-line block ×6, first 2 shown]
	v_fmac_f16_e32 v9, -0.5, v51
	v_fmac_f16_e32 v33, -0.5, v66
	v_fmamk_f16 v16, v27, 0xbb9c, v11
	v_fmamk_f16 v30, v41, 0x3b9c, v36
	v_add_f16_e32 v29, v17, v29
	v_fmamk_f16 v17, v28, 0x3b9c, v10
	v_fmac_f16_e32 v10, 0xbb9c, v28
	v_fmamk_f16 v37, v42, 0xbb9c, v31
	v_fmac_f16_e32 v31, 0x3b9c, v42
	v_fmac_f16_e32 v11, 0x3b9c, v27
	;; [unrolled: 1-line block ×3, first 2 shown]
	v_sub_f16_e32 v65, v26, v24
	v_add_f16_e32 v43, v14, v44
	v_add_f16_e32 v14, v45, v57
	;; [unrolled: 1-line block ×4, first 2 shown]
	v_fmamk_f16 v15, v47, 0xbb9c, v12
	v_add_f16_e32 v52, v39, v24
	v_fmamk_f16 v39, v56, 0x3b9c, v34
	v_add_f16_e32 v44, v49, v50
	v_add_f16_e32 v49, v8, v67
	v_fmamk_f16 v8, v48, 0x3b9c, v9
	v_fmac_f16_e32 v9, 0xbb9c, v48
	v_fmamk_f16 v40, v63, 0xbb9c, v33
	v_fmac_f16_e32 v33, 0x3b9c, v63
	v_add_f16_e32 v50, v53, v54
	v_fmac_f16_e32 v12, 0x3b9c, v47
	v_fmac_f16_e32 v34, 0xbb9c, v56
	;; [unrolled: 1-line block ×10, first 2 shown]
	v_add_f16_e32 v46, v64, v65
	v_add_f16_e32 v14, v14, v58
	v_fmac_f16_e32 v15, 0xb8b4, v48
	v_fmac_f16_e32 v39, 0x38b4, v63
	;; [unrolled: 1-line block ×6, first 2 shown]
	v_add_f16_e32 v23, v50, v55
	v_add_f16_e32 v24, v51, v38
	v_fmac_f16_e32 v12, 0x38b4, v48
	v_fmac_f16_e32 v34, 0xb8b4, v63
	;; [unrolled: 1-line block ×10, first 2 shown]
	v_add_f16_e32 v14, v14, v59
	v_add_f16_e32 v41, v52, v26
	v_fmac_f16_e32 v15, 0x34f2, v44
	v_fmac_f16_e32 v39, 0x34f2, v46
	;; [unrolled: 1-line block ×8, first 2 shown]
	v_pack_b32_f16 v26, v23, v24
	v_pack_b32_f16 v28, v16, v30
	;; [unrolled: 1-line block ×10, first 2 shown]
	ds_store_2addr_b32 v32, v26, v28 offset1:10
	ds_store_2addr_b32 v32, v29, v35 offset0:20 offset1:30
	ds_store_b32 v32, v38 offset:160
	ds_store_2addr_b32 v19, v27, v42 offset1:10
	ds_store_2addr_b32 v19, v43, v44 offset0:20 offset1:30
	ds_store_b32 v19, v45 offset:160
	global_wb scope:SCOPE_SE
	s_wait_dscnt 0x0
	s_barrier_signal -1
	s_barrier_wait -1
	global_inv scope:SCOPE_SE
                                        ; implicit-def: $vgpr29
                                        ; implicit-def: $vgpr19
                                        ; implicit-def: $vgpr47
                                        ; implicit-def: $vgpr43
	s_and_saveexec_b32 s1, s0
	s_cbranch_execz .LBB0_14
; %bb.13:
	ds_load_b32 v23, v20
	ds_load_2addr_b32 v[8:9], v13 offset0:94 offset1:144
	ds_load_2addr_b32 v[12:13], v13 offset0:194 offset1:244
	;; [unrolled: 1-line block ×6, first 2 shown]
	s_wait_dscnt 0x6
	v_lshrrev_b32_e32 v24, 16, v23
	s_wait_dscnt 0x5
	v_lshrrev_b32_e32 v33, 16, v9
	;; [unrolled: 2-line block ×3, first 2 shown]
	v_lshrrev_b32_e32 v43, 16, v13
	s_wait_dscnt 0x3
	v_lshrrev_b32_e32 v47, 16, v18
	v_lshrrev_b32_e32 v29, 16, v19
	s_wait_dscnt 0x2
	v_lshrrev_b32_e32 v30, 16, v16
	;; [unrolled: 3-line block ×4, first 2 shown]
	v_lshrrev_b32_e32 v39, 16, v15
	v_lshrrev_b32_e32 v40, 16, v8
.LBB0_14:
	s_wait_alu 0xfffe
	s_or_b32 exec_lo, exec_lo, s1
	global_wb scope:SCOPE_SE
	s_barrier_signal -1
	s_barrier_wait -1
	global_inv scope:SCOPE_SE
	s_and_saveexec_b32 s1, s0
	s_cbranch_execz .LBB0_16
; %bb.15:
	v_subrev_nc_u32_e32 v25, 50, v3
	v_mov_b32_e32 v26, 0
	s_delay_alu instid0(VALU_DEP_2) | instskip(NEXT) | instid1(VALU_DEP_1)
	v_cndmask_b32_e64 v25, v25, v3, s0
	v_mul_i32_i24_e32 v25, 12, v25
	s_delay_alu instid0(VALU_DEP_1) | instskip(NEXT) | instid1(VALU_DEP_1)
	v_lshlrev_b64_e32 v[25:26], 2, v[25:26]
	v_add_co_u32 v25, s0, s8, v25
	s_wait_alu 0xf1ff
	s_delay_alu instid0(VALU_DEP_2)
	v_add_co_ci_u32_e64 v26, s0, s9, v26, s0
	s_clause 0x2
	global_load_b128 v[52:55], v[25:26], off offset:160
	global_load_b128 v[56:59], v[25:26], off offset:176
	;; [unrolled: 1-line block ×3, first 2 shown]
	s_wait_loadcnt 0x2
	v_lshrrev_b32_e32 v25, 16, v52
	v_lshrrev_b32_e32 v26, 16, v53
	s_wait_loadcnt 0x0
	v_lshrrev_b32_e32 v38, 16, v51
	v_lshrrev_b32_e32 v27, 16, v54
	;; [unrolled: 1-line block ×10, first 2 shown]
	v_mul_f16_e32 v62, v19, v38
	v_mul_f16_e32 v63, v16, v25
	;; [unrolled: 1-line block ×24, first 2 shown]
	v_fma_f16 v29, v29, v51, -v62
	v_fma_f16 v60, v30, v52, -v63
	v_fmac_f16_e32 v64, v16, v52
	v_fmac_f16_e32 v25, v19, v51
	v_fma_f16 v19, v47, v50, -v65
	v_fma_f16 v52, v37, v53, -v66
	v_fmac_f16_e32 v45, v17, v53
	v_fmac_f16_e32 v26, v18, v50
	v_fma_f16 v50, v36, v55, -v70
	v_fmac_f16_e32 v46, v11, v55
	v_fma_f16 v36, v40, v58, -v61
	v_fmac_f16_e32 v35, v8, v58
	v_add_f16_e32 v53, v60, v29
	v_sub_f16_e32 v55, v60, v29
	v_add_f16_e32 v58, v24, v60
	v_fma_f16 v30, v43, v49, -v67
	v_fma_f16 v51, v31, v54, -v68
	v_fmac_f16_e32 v44, v10, v54
	v_fma_f16 v47, v41, v56, -v72
	v_fmac_f16_e32 v42, v14, v56
	;; [unrolled: 2-line block ×3, first 2 shown]
	v_sub_f16_e32 v18, v64, v25
	v_add_f16_e32 v54, v52, v19
	v_add_f16_e32 v17, v64, v25
	v_sub_f16_e32 v56, v52, v19
	v_add_f16_e32 v57, v23, v64
	v_mul_f16_e32 v61, 0xbbc4, v53
	v_mul_f16_e32 v65, 0xb3a8, v55
	v_add_f16_e32 v52, v58, v52
	v_fmac_f16_e32 v27, v13, v49
	v_fma_f16 v31, v34, v48, -v69
	v_fmac_f16_e32 v28, v12, v48
	v_fma_f16 v33, v33, v59, -v71
	v_sub_f16_e32 v12, v45, v26
	v_add_f16_e32 v48, v51, v30
	v_add_f16_e32 v16, v45, v26
	v_sub_f16_e32 v49, v51, v30
	v_mul_f16_e32 v62, 0x3b15, v54
	v_mul_f16_e32 v66, 0x3770, v56
	;; [unrolled: 1-line block ×6, first 2 shown]
	v_add_f16_e32 v45, v57, v45
	v_fmamk_f16 v88, v18, 0x33a8, v61
	v_fmamk_f16 v90, v17, 0xbbc4, v65
	v_add_f16_e32 v51, v52, v51
	v_sub_f16_e32 v11, v44, v27
	v_add_f16_e32 v41, v50, v31
	v_add_f16_e32 v15, v44, v27
	v_sub_f16_e32 v43, v50, v31
	v_mul_f16_e32 v70, 0x2fb7, v54
	v_mul_f16_e32 v72, 0x3bf1, v56
	;; [unrolled: 1-line block ×7, first 2 shown]
	v_fmamk_f16 v89, v12, 0xb770, v62
	v_fmamk_f16 v91, v16, 0x3b15, v66
	v_fmamk_f16 v92, v18, 0x394e, v69
	v_fmamk_f16 v94, v17, 0xb9fd, v71
	v_add_f16_e32 v44, v45, v44
	v_fmamk_f16 v45, v17, 0xb5ac, v75
	v_add_f16_e32 v88, v24, v88
	v_add_f16_e32 v50, v51, v50
	v_fmamk_f16 v51, v17, 0x2fb7, v79
	v_add_f16_e32 v90, v23, v90
	v_mul_f16_e32 v74, 0xb9fd, v54
	v_mul_f16_e32 v78, 0xbbc4, v54
	;; [unrolled: 1-line block ×6, first 2 shown]
	v_fmamk_f16 v93, v12, 0xbbf1, v70
	v_fmamk_f16 v95, v16, 0x2fb7, v72
	;; [unrolled: 1-line block ×5, first 2 shown]
	v_add_f16_e32 v92, v24, v92
	v_add_f16_e32 v88, v89, v88
	v_fmamk_f16 v89, v16, 0xbbc4, v80
	v_add_f16_e32 v94, v23, v94
	v_add_f16_e32 v90, v91, v90
	v_fmamk_f16 v91, v18, 0x3a95, v81
	v_add_f16_e32 v45, v23, v45
	v_add_f16_e32 v51, v23, v51
	v_fmac_f16_e32 v73, 0xbb7b, v18
	v_fma_f16 v75, v17, 0xb5ac, -v75
	v_fmac_f16_e32 v77, 0xbbf1, v18
	v_sub_f16_e32 v10, v46, v28
	v_add_f16_e32 v14, v46, v28
	v_mul_f16_e32 v63, 0xb9fd, v48
	v_mul_f16_e32 v67, 0xb94e, v49
	;; [unrolled: 1-line block ×6, first 2 shown]
	v_fmamk_f16 v97, v12, 0xb94e, v74
	v_add_f16_e32 v44, v44, v46
	v_fmamk_f16 v46, v12, 0x33a8, v78
	v_add_f16_e32 v92, v93, v92
	;; [unrolled: 2-line block ×3, first 2 shown]
	v_add_f16_e32 v94, v95, v94
	v_fmamk_f16 v95, v17, 0x388b, v83
	v_add_f16_e32 v52, v24, v52
	v_add_f16_e32 v45, v98, v45
	v_fmamk_f16 v98, v18, 0x3770, v53
	v_add_f16_e32 v91, v24, v91
	v_add_f16_e32 v51, v89, v51
	v_fmamk_f16 v89, v17, 0x3b15, v55
	v_fmac_f16_e32 v74, 0x394e, v12
	v_add_f16_e32 v73, v24, v73
	v_fma_f16 v76, v16, 0xb9fd, -v76
	v_add_f16_e32 v75, v23, v75
	v_fmac_f16_e32 v78, 0xb3a8, v12
	v_add_f16_e32 v77, v24, v77
	v_fmac_f16_e32 v32, v9, v59
	v_mul_f16_e32 v85, 0xba95, v49
	v_mul_f16_e32 v86, 0x3b15, v48
	;; [unrolled: 1-line block ×3, first 2 shown]
	v_add_f16_e32 v96, v97, v96
	v_fmamk_f16 v97, v16, 0xb5ac, v84
	v_add_f16_e32 v46, v46, v52
	v_fmamk_f16 v52, v12, 0x3a95, v54
	v_add_f16_e32 v95, v23, v95
	v_add_f16_e32 v98, v24, v98
	;; [unrolled: 1-line block ×3, first 2 shown]
	v_fmamk_f16 v93, v16, 0x388b, v56
	v_add_f16_e32 v89, v23, v89
	v_fmac_f16_e32 v61, 0xb3a8, v18
	v_fma_f16 v65, v17, 0xbbc4, -v65
	v_add_f16_e32 v73, v74, v73
	v_fmamk_f16 v74, v11, 0x394e, v63
	v_add_f16_e32 v75, v76, v75
	v_fmamk_f16 v76, v15, 0xb9fd, v67
	;; [unrolled: 2-line block ×3, first 2 shown]
	v_add_f16_e32 v37, v47, v33
	v_sub_f16_e32 v9, v42, v32
	v_add_f16_e32 v13, v42, v32
	v_sub_f16_e32 v39, v47, v33
	v_mul_f16_e32 v68, 0x3a95, v43
	v_mul_f16_e32 v58, 0xbbc4, v41
	v_add_f16_e32 v95, v97, v95
	v_mul_f16_e32 v97, 0xb5ac, v48
	v_add_f16_e32 v52, v52, v98
	;; [unrolled: 2-line block ×4, first 2 shown]
	v_fmac_f16_e32 v62, 0x3770, v12
	v_add_f16_e32 v61, v24, v61
	v_add_f16_e32 v47, v50, v47
	v_fma_f16 v66, v16, 0x3b15, -v66
	v_fma_f16 v71, v17, 0xb9fd, -v71
	v_add_f16_e32 v65, v23, v65
	v_add_f16_e32 v74, v74, v88
	v_fmamk_f16 v88, v15, 0x388b, v85
	v_add_f16_e32 v76, v76, v90
	v_fmamk_f16 v90, v11, 0xb770, v86
	v_add_f16_e32 v78, v78, v92
	v_fmamk_f16 v92, v15, 0x3b15, v87
	v_add_f16_e32 v34, v40, v36
	v_sub_f16_e32 v8, v38, v35
	v_add_f16_e32 v59, v38, v35
	v_sub_f16_e32 v60, v40, v36
	v_mul_f16_e32 v64, 0x388b, v41
	v_mul_f16_e32 v44, 0xb3a8, v49
	;; [unrolled: 1-line block ×3, first 2 shown]
	v_add_f16_e32 v61, v62, v61
	v_mul_f16_e32 v62, 0x2fb7, v41
	v_fmac_f16_e32 v69, 0xb94e, v18
	v_fma_f16 v72, v16, 0x2fb7, -v72
	v_add_f16_e32 v71, v23, v71
	v_add_f16_e32 v65, v66, v65
	v_mul_f16_e32 v66, 0xbbf1, v43
	v_add_f16_e32 v88, v88, v94
	v_fmamk_f16 v94, v11, 0xbb7b, v97
	v_add_f16_e32 v90, v90, v96
	v_fmamk_f16 v96, v15, 0xb5ac, v98
	;; [unrolled: 2-line block ×3, first 2 shown]
	v_fma_f16 v87, v15, 0x3b15, -v87
	v_add_f16_e32 v38, v42, v38
	v_fmamk_f16 v42, v14, 0x388b, v68
	v_add_f16_e32 v40, v47, v40
	v_fmamk_f16 v47, v10, 0xb3a8, v58
	v_mul_f16_e32 v49, 0xbbf1, v49
	v_mul_f16_e32 v50, 0x33a8, v43
	v_fmac_f16_e32 v70, 0x3bf1, v12
	v_add_f16_e32 v69, v24, v69
	v_add_f16_e32 v71, v72, v71
	v_mul_f16_e32 v72, 0x3770, v43
	v_add_f16_e32 v46, v94, v46
	v_fmamk_f16 v94, v15, 0xbbc4, v44
	v_add_f16_e32 v51, v96, v51
	v_fmamk_f16 v96, v11, 0x3bf1, v48
	v_add_f16_e32 v91, v92, v91
	v_mul_f16_e32 v92, 0xb9fd, v41
	v_fmac_f16_e32 v63, 0xb94e, v11
	v_fma_f16 v67, v15, 0xb9fd, -v67
	v_fmac_f16_e32 v86, 0x3770, v11
	v_add_f16_e32 v75, v87, v75
	v_fmamk_f16 v87, v10, 0xba95, v64
	v_add_f16_e32 v42, v42, v76
	v_fmamk_f16 v76, v10, 0x3bf1, v62
	;; [unrolled: 2-line block ×3, first 2 shown]
	v_add_f16_e32 v69, v70, v69
	v_mul_f16_e32 v70, 0x3b15, v41
	v_add_f16_e32 v94, v94, v95
	v_mul_f16_e32 v95, 0x394e, v43
	v_add_f16_e32 v52, v96, v52
	v_fmamk_f16 v96, v15, 0x2fb7, v49
	v_mul_f16_e32 v41, 0xb5ac, v41
	v_mul_f16_e32 v43, 0xbb7b, v43
	v_add_f16_e32 v61, v63, v61
	v_mul_f16_e32 v63, 0xbb7b, v39
	v_add_f16_e32 v65, v67, v65
	v_mul_f16_e32 v67, 0x3b15, v37
	v_fma_f16 v85, v15, 0x388b, -v85
	v_add_f16_e32 v73, v86, v73
	v_add_f16_e32 v74, v87, v74
	v_fmamk_f16 v87, v14, 0xbbc4, v50
	v_add_f16_e32 v76, v76, v90
	v_fmamk_f16 v90, v14, 0x3b15, v72
	;; [unrolled: 2-line block ×3, first 2 shown]
	v_fmac_f16_e32 v62, 0xbbf1, v10
	v_fma_f16 v66, v14, 0x2fb7, -v66
	v_add_f16_e32 v89, v96, v89
	v_mul_f16_e32 v96, 0xb5ac, v37
	v_fmac_f16_e32 v57, 0xba95, v11
	v_add_f16_e32 v71, v85, v71
	v_mul_f16_e32 v85, 0xbbc4, v37
	v_mul_f16_e32 v86, 0x33a8, v39
	v_add_f16_e32 v87, v87, v88
	v_fmamk_f16 v88, v10, 0xb770, v70
	v_add_f16_e32 v51, v90, v51
	v_fmamk_f16 v90, v10, 0x3b7b, v41
	;; [unrolled: 2-line block ×3, first 2 shown]
	v_fma_f16 v50, v14, 0xbbc4, -v50
	v_add_f16_e32 v62, v62, v73
	v_fmamk_f16 v73, v13, 0xb5ac, v63
	v_add_f16_e32 v66, v66, v75
	v_fmamk_f16 v75, v9, 0xb770, v67
	v_add_f16_e32 v57, v57, v69
	v_mul_f16_e32 v69, 0x3770, v39
	v_add_f16_e32 v46, v88, v46
	v_fmamk_f16 v88, v14, 0xb9fd, v95
	v_add_f16_e32 v52, v90, v52
	v_mul_f16_e32 v90, 0xba95, v39
	v_add_f16_e32 v89, v91, v89
	v_mul_f16_e32 v91, 0x2fb7, v37
	v_add_f16_e32 v50, v50, v71
	v_fmamk_f16 v71, v9, 0x3b7b, v96
	v_add_f16_e32 v42, v73, v42
	v_fmamk_f16 v73, v9, 0xb3a8, v85
	v_add_f16_e32 v47, v75, v47
	v_fmamk_f16 v75, v13, 0xbbc4, v86
	v_add_f16_e32 v88, v88, v94
	v_mul_f16_e32 v94, 0x388b, v37
	v_add_f16_e32 v35, v38, v35
	v_mul_f16_e32 v38, 0x3bf1, v39
	v_mul_f16_e32 v37, 0xb9fd, v37
	v_fmac_f16_e32 v64, 0x3a95, v10
	v_mul_f16_e32 v39, 0xb94e, v39
	v_fma_f16 v68, v14, 0x388b, -v68
	v_fmac_f16_e32 v58, 0x33a8, v10
	v_add_f16_e32 v71, v71, v74
	v_fmamk_f16 v74, v13, 0x3b15, v69
	v_add_f16_e32 v73, v73, v76
	v_fmamk_f16 v76, v13, 0x388b, v90
	;; [unrolled: 2-line block ×3, first 2 shown]
	v_add_f16_e32 v36, v40, v36
	v_mul_f16_e32 v40, 0x2fb7, v34
	v_add_f16_e32 v61, v64, v61
	v_mul_f16_e32 v64, 0x3bf1, v60
	v_add_f16_e32 v65, v68, v65
	v_add_f16_e32 v57, v58, v57
	;; [unrolled: 1-line block ×3, first 2 shown]
	v_fmamk_f16 v87, v9, 0x3a95, v94
	v_add_f16_e32 v51, v76, v51
	v_fmamk_f16 v76, v9, 0x394e, v37
	v_add_f16_e32 v75, v75, v78
	v_fmamk_f16 v78, v13, 0xb9fd, v39
	v_fma_f16 v63, v13, 0xb5ac, -v63
	v_fmac_f16_e32 v67, 0x3770, v9
	v_mul_f16_e32 v68, 0xb5ac, v34
	v_mul_f16_e32 v58, 0xbb7b, v60
	v_add_f16_e32 v46, v87, v46
	v_fmamk_f16 v87, v13, 0x2fb7, v38
	v_add_f16_e32 v52, v76, v52
	v_mul_f16_e32 v76, 0x3a95, v60
	v_add_f16_e32 v78, v78, v89
	v_mul_f16_e32 v89, 0xb9fd, v34
	v_fmac_f16_e32 v96, 0xbb7b, v9
	v_add_f16_e32 v32, v35, v32
	v_add_f16_e32 v33, v36, v33
	v_fma_f16 v69, v13, 0x3b15, -v69
	v_fmac_f16_e32 v85, 0x33a8, v9
	v_add_f16_e32 v63, v63, v65
	v_fmamk_f16 v65, v8, 0xbbf1, v40
	v_add_f16_e32 v57, v67, v57
	v_fmamk_f16 v67, v59, 0x2fb7, v64
	v_add_f16_e32 v87, v87, v88
	v_mul_f16_e32 v88, 0x388b, v34
	v_mul_f16_e32 v35, 0xb94e, v60
	;; [unrolled: 1-line block ×3, first 2 shown]
	v_add_f16_e32 v61, v96, v61
	v_mul_f16_e32 v96, 0x3770, v60
	v_mul_f16_e32 v34, 0xbbc4, v34
	;; [unrolled: 1-line block ×3, first 2 shown]
	v_add_f16_e32 v50, v69, v50
	v_fmamk_f16 v69, v8, 0x3b7b, v68
	v_add_f16_e32 v62, v85, v62
	v_fmamk_f16 v85, v59, 0xb5ac, v58
	;; [unrolled: 2-line block ×4, first 2 shown]
	v_add_f16_e32 v28, v32, v28
	v_add_f16_e32 v31, v33, v31
	;; [unrolled: 1-line block ×3, first 2 shown]
	v_fmamk_f16 v69, v59, 0xb9fd, v35
	v_add_f16_e32 v74, v85, v74
	v_fmamk_f16 v85, v8, 0xb770, v36
	v_add_f16_e32 v45, v71, v45
	;; [unrolled: 2-line block ×3, first 2 shown]
	v_fmamk_f16 v67, v59, 0xbbc4, v60
	v_fma_f16 v79, v17, 0x2fb7, -v79
	v_fmac_f16_e32 v81, 0xba95, v18
	v_add_f16_e32 v27, v28, v27
	v_add_f16_e32 v28, v31, v30
	v_fmac_f16_e32 v40, 0x3bf1, v8
	v_fmac_f16_e32 v68, 0xbb7b, v8
	v_fma_f16 v58, v59, 0xb5ac, -v58
	v_add_f16_e32 v51, v69, v51
	v_add_f16_e32 v69, v85, v75
	;; [unrolled: 1-line block ×4, first 2 shown]
	v_fma_f16 v67, v16, 0xbbc4, -v80
	v_fmac_f16_e32 v82, 0xbb7b, v12
	v_fmac_f16_e32 v97, 0x3b7b, v11
	v_add_f16_e32 v71, v23, v79
	v_add_f16_e32 v75, v24, v81
	v_add_f16_e32 v26, v27, v26
	v_add_f16_e32 v19, v28, v19
	v_add_f16_e32 v30, v40, v61
	v_add_f16_e32 v40, v68, v57
	v_add_f16_e32 v27, v58, v50
	v_add_f16_e32 v25, v26, v25
	v_add_f16_e32 v19, v19, v29
	v_add_f16_e32 v26, v67, v71
	v_fma_f16 v29, v15, 0xb5ac, -v98
	v_add_f16_e32 v57, v82, v75
	v_fmac_f16_e32 v93, 0xb3a8, v11
	v_add_f16_e32 v58, v97, v77
	v_fmac_f16_e32 v70, 0x3770, v10
	v_add_f16_e32 v26, v29, v26
	v_fma_f16 v29, v14, 0x3b15, -v72
	v_add_f16_e32 v57, v93, v57
	v_fmac_f16_e32 v92, 0x394e, v10
	v_add_f16_e32 v58, v70, v58
	v_fmac_f16_e32 v94, 0xba95, v9
	v_add_f16_e32 v26, v29, v26
	;; [unrolled: 6-line block ×3, first 2 shown]
	v_fma_f16 v29, v59, 0xb9fd, -v35
	v_add_f16_e32 v35, v91, v57
	v_fmac_f16_e32 v36, 0x3770, v8
	v_add_f16_e32 v57, v89, v58
	v_fma_f16 v58, v17, 0x388b, -v83
	v_fmac_f16_e32 v53, 0xb770, v18
	v_fma_f16 v17, v17, 0x3b15, -v55
	v_add_f16_e32 v26, v29, v26
	v_add_f16_e32 v18, v36, v35
	;; [unrolled: 1-line block ×3, first 2 shown]
	v_fma_f16 v35, v16, 0xb5ac, -v84
	v_add_f16_e32 v24, v24, v53
	v_fmac_f16_e32 v54, 0xba95, v12
	v_add_f16_e32 v12, v23, v17
	v_fma_f16 v16, v16, 0x388b, -v56
	v_fma_f16 v86, v13, 0xbbc4, -v86
	v_add_f16_e32 v17, v35, v29
	v_fma_f16 v23, v15, 0xbbc4, -v44
	v_add_f16_e32 v24, v54, v24
	v_fmac_f16_e32 v48, 0xbbf1, v11
	v_add_f16_e32 v11, v16, v12
	v_fma_f16 v12, v15, 0x2fb7, -v49
	v_add_f16_e32 v66, v86, v66
	v_fmamk_f16 v86, v8, 0xba95, v88
	v_add_f16_e32 v15, v23, v17
	v_fma_f16 v16, v14, 0xb9fd, -v95
	v_add_f16_e32 v17, v48, v24
	v_fmac_f16_e32 v41, 0xbb7b, v10
	v_add_f16_e32 v10, v12, v11
	v_fma_f16 v11, v14, 0xb5ac, -v43
	v_add_f16_e32 v73, v86, v73
	v_fmamk_f16 v86, v59, 0x3b15, v96
	v_add_f16_e32 v12, v16, v15
	v_fma_f16 v14, v13, 0x2fb7, -v38
	v_add_f16_e32 v15, v41, v17
	v_fmac_f16_e32 v37, 0xb94e, v9
	v_add_f16_e32 v9, v11, v10
	v_fma_f16 v10, v13, 0xb9fd, -v39
	v_add_f16_e32 v32, v86, v87
	v_fma_f16 v64, v59, 0x2fb7, -v64
	v_fmac_f16_e32 v88, 0x3a95, v8
	v_fma_f16 v76, v59, 0x388b, -v76
	v_add_f16_e32 v11, v14, v12
	v_fma_f16 v12, v59, 0x3b15, -v96
	v_add_f16_e32 v13, v37, v15
	v_fmac_f16_e32 v34, 0xb3a8, v8
	v_add_f16_e32 v8, v10, v9
	v_fma_f16 v9, v59, 0xbbc4, -v60
	v_pack_b32_f16 v10, v25, v19
	v_pack_b32_f16 v14, v52, v33
	;; [unrolled: 1-line block ×3, first 2 shown]
	v_add_f16_e32 v31, v64, v63
	v_add_f16_e32 v28, v88, v62
	v_add_f16_e32 v50, v76, v66
	v_add_f16_e32 v11, v12, v11
	v_add_f16_e32 v12, v34, v13
	v_add_f16_e32 v8, v9, v8
	ds_store_b32 v20, v10
	ds_store_2addr_b32 v21, v14, v15 offset0:50 offset1:100
	v_add_nc_u32_e32 v15, 0x200, v21
	v_pack_b32_f16 v9, v51, v46
	v_pack_b32_f16 v10, v45, v73
	;; [unrolled: 1-line block ×6, first 2 shown]
	v_add_nc_u32_e32 v19, 0x400, v21
	v_pack_b32_f16 v23, v50, v28
	v_pack_b32_f16 v24, v26, v57
	;; [unrolled: 1-line block ×4, first 2 shown]
	v_add_nc_u32_e32 v12, 0x800, v21
	ds_store_2addr_b32 v21, v9, v10 offset0:150 offset1:200
	ds_store_2addr_b32 v15, v13, v14 offset0:122 offset1:172
	;; [unrolled: 1-line block ×5, first 2 shown]
.LBB0_16:
	s_wait_alu 0xfffe
	s_or_b32 exec_lo, exec_lo, s1
	global_wb scope:SCOPE_SE
	s_wait_dscnt 0x0
	s_barrier_signal -1
	s_barrier_wait -1
	global_inv scope:SCOPE_SE
	ds_load_b32 v8, v20
	v_sub_nc_u32_e32 v11, v0, v4
	s_mov_b32 s1, exec_lo
                                        ; implicit-def: $vgpr13
                                        ; implicit-def: $vgpr12
                                        ; implicit-def: $vgpr14
                                        ; implicit-def: $vgpr9_vgpr10
	v_cmpx_ne_u32_e32 0, v3
	s_wait_alu 0xfffe
	s_xor_b32 s1, exec_lo, s1
	s_cbranch_execz .LBB0_18
; %bb.17:
	v_mov_b32_e32 v4, 0
	s_delay_alu instid0(VALU_DEP_1) | instskip(NEXT) | instid1(VALU_DEP_1)
	v_lshlrev_b64_e32 v[9:10], 2, v[3:4]
	v_add_co_u32 v9, s0, s8, v9
	s_wait_alu 0xf1ff
	s_delay_alu instid0(VALU_DEP_2)
	v_add_co_ci_u32_e64 v10, s0, s9, v10, s0
	global_load_b32 v9, v[9:10], off offset:2560
	ds_load_b32 v10, v11 offset:2600
	s_wait_dscnt 0x0
	v_pk_add_f16 v12, v8, v10 neg_lo:[0,1] neg_hi:[0,1]
	v_pk_add_f16 v8, v10, v8
	s_delay_alu instid0(VALU_DEP_1) | instskip(SKIP_1) | instid1(VALU_DEP_2)
	v_bfi_b32 v10, 0xffff, v12, v8
	v_bfi_b32 v8, 0xffff, v8, v12
	v_pk_mul_f16 v10, v10, 0.5 op_sel_hi:[1,0]
	s_delay_alu instid0(VALU_DEP_2) | instskip(SKIP_1) | instid1(VALU_DEP_2)
	v_pk_mul_f16 v13, v8, 0.5 op_sel_hi:[1,0]
	s_wait_loadcnt 0x0
	v_pk_mul_f16 v12, v9, v10 op_sel:[1,0]
	v_pk_mul_f16 v9, v9, v10 op_sel_hi:[0,1]
	s_delay_alu instid0(VALU_DEP_3) | instskip(NEXT) | instid1(VALU_DEP_3)
	v_lshrrev_b32_e32 v10, 16, v13
	v_pk_fma_f16 v8, v8, 0.5, v12 op_sel_hi:[1,0,1]
	v_lshrrev_b32_e32 v14, 16, v12
	v_sub_f16_e32 v12, v13, v12
	v_lshrrev_b32_e32 v13, 16, v9
	s_delay_alu instid0(VALU_DEP_4) | instskip(SKIP_2) | instid1(VALU_DEP_4)
	v_pk_add_f16 v15, v8, v9 op_sel:[0,1] op_sel_hi:[1,0]
	v_pk_add_f16 v8, v8, v9 op_sel:[0,1] op_sel_hi:[1,0] neg_lo:[0,1] neg_hi:[0,1]
	v_sub_f16_e32 v10, v14, v10
	v_sub_f16_e32 v12, v12, v13
	s_delay_alu instid0(VALU_DEP_3) | instskip(NEXT) | instid1(VALU_DEP_3)
	v_bfi_b32 v13, 0xffff, v15, v8
	v_sub_f16_e32 v14, v10, v9
	v_dual_mov_b32 v10, v4 :: v_dual_mov_b32 v9, v3
                                        ; implicit-def: $vgpr8
.LBB0_18:
	s_wait_alu 0xfffe
	s_and_not1_saveexec_b32 s0, s1
	s_cbranch_execz .LBB0_20
; %bb.19:
	ds_load_u16 v4, v0 offset:1302
	s_wait_dscnt 0x1
	s_wait_alu 0xfffe
	v_alignbit_b32 v9, s0, v8, 16
	v_lshrrev_b32_e32 v10, 16, v8
	v_mov_b32_e32 v14, 0
	s_delay_alu instid0(VALU_DEP_3) | instskip(NEXT) | instid1(VALU_DEP_3)
	v_pk_add_f16 v9, v9, v8
	v_sub_f16_e32 v12, v8, v10
	s_delay_alu instid0(VALU_DEP_2)
	v_pack_b32_f16 v13, v9, 0
	v_mov_b32_e32 v9, 0
	v_mov_b32_e32 v10, 0
	s_wait_dscnt 0x0
	v_xor_b32_e32 v4, 0x8000, v4
	ds_store_b16 v0, v4 offset:1302
.LBB0_20:
	s_wait_alu 0xfffe
	s_or_b32 exec_lo, exec_lo, s0
	s_wait_dscnt 0x0
	v_mov_b32_e32 v8, 0
	v_lshlrev_b64_e32 v[9:10], 2, v[9:10]
	s_delay_alu instid0(VALU_DEP_2) | instskip(NEXT) | instid1(VALU_DEP_1)
	v_lshlrev_b64_e32 v[15:16], 2, v[7:8]
	v_add_co_u32 v15, s0, s8, v15
	s_wait_alu 0xf1ff
	s_delay_alu instid0(VALU_DEP_2)
	v_add_co_ci_u32_e64 v16, s0, s9, v16, s0
	s_add_nc_u64 s[0:1], s[8:9], 0xa00
	s_wait_alu 0xfffe
	v_add_co_u32 v9, s0, s0, v9
	global_load_b32 v4, v[15:16], off offset:2560
	s_wait_alu 0xf1ff
	v_add_co_ci_u32_e64 v10, s0, s1, v10, s0
	s_clause 0x2
	global_load_b32 v7, v[9:10], off offset:520
	global_load_b32 v15, v[9:10], off offset:780
	;; [unrolled: 1-line block ×3, first 2 shown]
	ds_store_b16 v11, v14 offset:2602
	ds_store_b32 v20, v13
	ds_store_b16 v11, v12 offset:2600
	ds_load_b32 v10, v22
	ds_load_b32 v12, v11 offset:2340
	s_wait_dscnt 0x0
	v_pk_add_f16 v13, v10, v12 neg_lo:[0,1] neg_hi:[0,1]
	v_pk_add_f16 v10, v10, v12
	s_delay_alu instid0(VALU_DEP_1) | instskip(SKIP_1) | instid1(VALU_DEP_2)
	v_bfi_b32 v12, 0xffff, v13, v10
	v_bfi_b32 v10, 0xffff, v10, v13
	v_pk_mul_f16 v12, v12, 0.5 op_sel_hi:[1,0]
	s_delay_alu instid0(VALU_DEP_2) | instskip(SKIP_1) | instid1(VALU_DEP_1)
	v_pk_mul_f16 v10, v10, 0.5 op_sel_hi:[1,0]
	s_wait_loadcnt 0x3
	v_pk_fma_f16 v13, v4, v12, v10 op_sel:[1,0,0]
	v_pk_mul_f16 v14, v4, v12 op_sel_hi:[0,1]
	v_pk_fma_f16 v16, v4, v12, v10 op_sel:[1,0,0] neg_lo:[1,0,0] neg_hi:[1,0,0]
	v_pk_fma_f16 v4, v4, v12, v10 op_sel:[1,0,0] neg_lo:[0,0,1] neg_hi:[0,0,1]
	s_delay_alu instid0(VALU_DEP_3) | instskip(SKIP_1) | instid1(VALU_DEP_4)
	v_pk_add_f16 v10, v13, v14 op_sel:[0,1] op_sel_hi:[1,0]
	v_pk_add_f16 v12, v13, v14 op_sel:[0,1] op_sel_hi:[1,0] neg_lo:[0,1] neg_hi:[0,1]
	v_pk_add_f16 v13, v16, v14 op_sel:[0,1] op_sel_hi:[1,0] neg_lo:[0,1] neg_hi:[0,1]
	s_delay_alu instid0(VALU_DEP_4) | instskip(NEXT) | instid1(VALU_DEP_3)
	v_pk_add_f16 v4, v4, v14 op_sel:[0,1] op_sel_hi:[1,0] neg_lo:[0,1] neg_hi:[0,1]
	v_bfi_b32 v10, 0xffff, v10, v12
	s_delay_alu instid0(VALU_DEP_2)
	v_bfi_b32 v4, 0xffff, v13, v4
	ds_store_b32 v22, v10
	ds_store_b32 v11, v4 offset:2340
	ds_load_b32 v4, v20 offset:520
	ds_load_b32 v10, v11 offset:2080
	s_wait_dscnt 0x0
	v_pk_add_f16 v12, v4, v10 neg_lo:[0,1] neg_hi:[0,1]
	v_pk_add_f16 v4, v4, v10
	s_delay_alu instid0(VALU_DEP_1) | instskip(SKIP_1) | instid1(VALU_DEP_2)
	v_bfi_b32 v10, 0xffff, v12, v4
	v_bfi_b32 v4, 0xffff, v4, v12
	v_pk_mul_f16 v10, v10, 0.5 op_sel_hi:[1,0]
	s_delay_alu instid0(VALU_DEP_2) | instskip(SKIP_1) | instid1(VALU_DEP_2)
	v_pk_mul_f16 v4, v4, 0.5 op_sel_hi:[1,0]
	s_wait_loadcnt 0x2
	v_pk_mul_f16 v13, v7, v10 op_sel_hi:[0,1]
	s_delay_alu instid0(VALU_DEP_2) | instskip(SKIP_2) | instid1(VALU_DEP_3)
	v_pk_fma_f16 v12, v7, v10, v4 op_sel:[1,0,0]
	v_pk_fma_f16 v14, v7, v10, v4 op_sel:[1,0,0] neg_lo:[1,0,0] neg_hi:[1,0,0]
	v_pk_fma_f16 v4, v7, v10, v4 op_sel:[1,0,0] neg_lo:[0,0,1] neg_hi:[0,0,1]
	v_pk_add_f16 v7, v12, v13 op_sel:[0,1] op_sel_hi:[1,0]
	v_pk_add_f16 v10, v12, v13 op_sel:[0,1] op_sel_hi:[1,0] neg_lo:[0,1] neg_hi:[0,1]
	s_delay_alu instid0(VALU_DEP_4) | instskip(NEXT) | instid1(VALU_DEP_4)
	v_pk_add_f16 v12, v14, v13 op_sel:[0,1] op_sel_hi:[1,0] neg_lo:[0,1] neg_hi:[0,1]
	v_pk_add_f16 v4, v4, v13 op_sel:[0,1] op_sel_hi:[1,0] neg_lo:[0,1] neg_hi:[0,1]
	s_delay_alu instid0(VALU_DEP_3) | instskip(NEXT) | instid1(VALU_DEP_2)
	v_bfi_b32 v7, 0xffff, v7, v10
	v_bfi_b32 v4, 0xffff, v12, v4
	ds_store_b32 v20, v7 offset:520
	ds_store_b32 v11, v4 offset:2080
	ds_load_b32 v4, v20 offset:780
	ds_load_b32 v7, v11 offset:1820
	s_wait_dscnt 0x0
	v_pk_add_f16 v10, v4, v7 neg_lo:[0,1] neg_hi:[0,1]
	v_pk_add_f16 v4, v4, v7
	s_delay_alu instid0(VALU_DEP_1) | instskip(SKIP_1) | instid1(VALU_DEP_2)
	v_bfi_b32 v7, 0xffff, v10, v4
	v_bfi_b32 v4, 0xffff, v4, v10
	v_pk_mul_f16 v7, v7, 0.5 op_sel_hi:[1,0]
	s_delay_alu instid0(VALU_DEP_2) | instskip(SKIP_1) | instid1(VALU_DEP_2)
	v_pk_mul_f16 v4, v4, 0.5 op_sel_hi:[1,0]
	s_wait_loadcnt 0x1
	v_pk_mul_f16 v12, v15, v7 op_sel_hi:[0,1]
	s_delay_alu instid0(VALU_DEP_2) | instskip(SKIP_2) | instid1(VALU_DEP_3)
	v_pk_fma_f16 v10, v15, v7, v4 op_sel:[1,0,0]
	v_pk_fma_f16 v13, v15, v7, v4 op_sel:[1,0,0] neg_lo:[1,0,0] neg_hi:[1,0,0]
	v_pk_fma_f16 v4, v15, v7, v4 op_sel:[1,0,0] neg_lo:[0,0,1] neg_hi:[0,0,1]
	v_pk_add_f16 v7, v10, v12 op_sel:[0,1] op_sel_hi:[1,0]
	v_pk_add_f16 v10, v10, v12 op_sel:[0,1] op_sel_hi:[1,0] neg_lo:[0,1] neg_hi:[0,1]
	s_delay_alu instid0(VALU_DEP_4) | instskip(NEXT) | instid1(VALU_DEP_4)
	v_pk_add_f16 v13, v13, v12 op_sel:[0,1] op_sel_hi:[1,0] neg_lo:[0,1] neg_hi:[0,1]
	v_pk_add_f16 v4, v4, v12 op_sel:[0,1] op_sel_hi:[1,0] neg_lo:[0,1] neg_hi:[0,1]
	s_delay_alu instid0(VALU_DEP_3) | instskip(NEXT) | instid1(VALU_DEP_2)
	v_bfi_b32 v7, 0xffff, v7, v10
	v_bfi_b32 v4, 0xffff, v13, v4
	ds_store_b32 v20, v7 offset:780
	ds_store_b32 v11, v4 offset:1820
	ds_load_b32 v4, v20 offset:1040
	ds_load_b32 v7, v11 offset:1560
	s_wait_dscnt 0x0
	v_pk_add_f16 v10, v4, v7 neg_lo:[0,1] neg_hi:[0,1]
	v_pk_add_f16 v4, v4, v7
	s_delay_alu instid0(VALU_DEP_1) | instskip(SKIP_1) | instid1(VALU_DEP_2)
	v_bfi_b32 v7, 0xffff, v10, v4
	v_bfi_b32 v4, 0xffff, v4, v10
	v_pk_mul_f16 v7, v7, 0.5 op_sel_hi:[1,0]
	s_delay_alu instid0(VALU_DEP_2) | instskip(SKIP_1) | instid1(VALU_DEP_2)
	v_pk_mul_f16 v4, v4, 0.5 op_sel_hi:[1,0]
	s_wait_loadcnt 0x0
	v_pk_mul_f16 v12, v9, v7 op_sel_hi:[0,1]
	s_delay_alu instid0(VALU_DEP_2) | instskip(SKIP_2) | instid1(VALU_DEP_3)
	v_pk_fma_f16 v10, v9, v7, v4 op_sel:[1,0,0]
	v_pk_fma_f16 v13, v9, v7, v4 op_sel:[1,0,0] neg_lo:[1,0,0] neg_hi:[1,0,0]
	v_pk_fma_f16 v4, v9, v7, v4 op_sel:[1,0,0] neg_lo:[0,0,1] neg_hi:[0,0,1]
	v_pk_add_f16 v7, v10, v12 op_sel:[0,1] op_sel_hi:[1,0]
	v_pk_add_f16 v9, v10, v12 op_sel:[0,1] op_sel_hi:[1,0] neg_lo:[0,1] neg_hi:[0,1]
	s_delay_alu instid0(VALU_DEP_4) | instskip(NEXT) | instid1(VALU_DEP_4)
	v_pk_add_f16 v10, v13, v12 op_sel:[0,1] op_sel_hi:[1,0] neg_lo:[0,1] neg_hi:[0,1]
	v_pk_add_f16 v4, v4, v12 op_sel:[0,1] op_sel_hi:[1,0] neg_lo:[0,1] neg_hi:[0,1]
	s_delay_alu instid0(VALU_DEP_3) | instskip(NEXT) | instid1(VALU_DEP_2)
	v_bfi_b32 v7, 0xffff, v7, v9
	v_bfi_b32 v4, 0xffff, v10, v4
	ds_store_b32 v20, v7 offset:1040
	ds_store_b32 v11, v4 offset:1560
	global_wb scope:SCOPE_SE
	s_wait_dscnt 0x0
	s_barrier_signal -1
	s_barrier_wait -1
	global_inv scope:SCOPE_SE
	s_and_saveexec_b32 s0, vcc_lo
	s_cbranch_execz .LBB0_23
; %bb.21:
	v_mul_lo_u32 v4, s3, v5
	v_mul_lo_u32 v6, s2, v6
	v_mad_co_u64_u32 v[9:10], null, s2, v5, 0
	v_lshl_add_u32 v5, v3, 2, v0
	v_lshlrev_b64_e32 v[0:1], 2, v[1:2]
	v_add_nc_u32_e32 v7, 0x41, v3
	ds_load_2addr_b32 v[11:12], v5 offset1:65
	v_add3_u32 v10, v10, v6, v4
	v_mov_b32_e32 v4, v8
	ds_load_2addr_b32 v[17:18], v5 offset0:130 offset1:195
	v_lshlrev_b64_e32 v[15:16], 2, v[7:8]
	v_add_nc_u32_e32 v7, 0x82, v3
	v_lshlrev_b64_e32 v[9:10], 2, v[9:10]
	v_lshlrev_b64_e32 v[13:14], 2, v[3:4]
	s_delay_alu instid0(VALU_DEP_2) | instskip(SKIP_1) | instid1(VALU_DEP_3)
	v_add_co_u32 v2, vcc_lo, s6, v9
	s_wait_alu 0xfffd
	v_add_co_ci_u32_e32 v4, vcc_lo, s7, v10, vcc_lo
	v_lshlrev_b64_e32 v[9:10], 2, v[7:8]
	v_add_nc_u32_e32 v7, 0xc3, v3
	v_add_co_u32 v0, vcc_lo, v2, v0
	s_wait_alu 0xfffd
	v_add_co_ci_u32_e32 v1, vcc_lo, v4, v1, vcc_lo
	s_delay_alu instid0(VALU_DEP_3) | instskip(SKIP_4) | instid1(VALU_DEP_3)
	v_lshlrev_b64_e32 v[19:20], 2, v[7:8]
	v_add_nc_u32_e32 v7, 0x104, v3
	v_add_co_u32 v13, vcc_lo, v0, v13
	s_wait_alu 0xfffd
	v_add_co_ci_u32_e32 v14, vcc_lo, v1, v14, vcc_lo
	v_lshlrev_b64_e32 v[21:22], 2, v[7:8]
	v_add_nc_u32_e32 v7, 0x145, v3
	v_add_co_u32 v15, vcc_lo, v0, v15
	s_wait_alu 0xfffd
	v_add_co_ci_u32_e32 v16, vcc_lo, v1, v16, vcc_lo
	s_delay_alu instid0(VALU_DEP_3) | instskip(SKIP_4) | instid1(VALU_DEP_3)
	v_lshlrev_b64_e32 v[25:26], 2, v[7:8]
	v_add_nc_u32_e32 v7, 0x186, v3
	v_add_co_u32 v9, vcc_lo, v0, v9
	s_wait_alu 0xfffd
	v_add_co_ci_u32_e32 v10, vcc_lo, v1, v10, vcc_lo
	v_lshlrev_b64_e32 v[27:28], 2, v[7:8]
	v_add_nc_u32_e32 v7, 0x1c7, v3
	v_add_co_u32 v19, vcc_lo, v0, v19
	s_wait_alu 0xfffd
	v_add_co_ci_u32_e32 v20, vcc_lo, v1, v20, vcc_lo
	s_delay_alu instid0(VALU_DEP_3)
	v_lshlrev_b64_e32 v[31:32], 2, v[7:8]
	v_add_nc_u32_e32 v7, 0x208, v3
	v_add_co_u32 v21, vcc_lo, v0, v21
	v_add_nc_u32_e32 v2, 0x400, v5
	s_wait_alu 0xfffd
	v_add_co_ci_u32_e32 v22, vcc_lo, v1, v22, vcc_lo
	v_add_co_u32 v25, vcc_lo, v0, v25
	v_lshlrev_b64_e32 v[35:36], 2, v[7:8]
	v_add_nc_u32_e32 v7, 0x249, v3
	s_wait_alu 0xfffd
	v_add_co_ci_u32_e32 v26, vcc_lo, v1, v26, vcc_lo
	ds_load_2addr_b32 v[23:24], v2 offset0:4 offset1:69
	ds_load_2addr_b32 v[29:30], v2 offset0:134 offset1:199
	v_add_nc_u32_e32 v2, 0x800, v5
	v_add_co_u32 v27, vcc_lo, v0, v27
	s_wait_alu 0xfffd
	v_add_co_ci_u32_e32 v28, vcc_lo, v1, v28, vcc_lo
	v_add_co_u32 v31, vcc_lo, v0, v31
	v_lshlrev_b64_e32 v[6:7], 2, v[7:8]
	ds_load_2addr_b32 v[33:34], v2 offset0:8 offset1:73
	s_wait_alu 0xfffd
	v_add_co_ci_u32_e32 v32, vcc_lo, v1, v32, vcc_lo
	v_add_co_u32 v35, vcc_lo, v0, v35
	s_wait_alu 0xfffd
	v_add_co_ci_u32_e32 v36, vcc_lo, v1, v36, vcc_lo
	v_add_co_u32 v6, vcc_lo, v0, v6
	s_wait_alu 0xfffd
	v_add_co_ci_u32_e32 v7, vcc_lo, v1, v7, vcc_lo
	v_cmp_eq_u32_e32 vcc_lo, 64, v3
	s_wait_dscnt 0x4
	s_clause 0x1
	global_store_b32 v[13:14], v11, off
	global_store_b32 v[15:16], v12, off
	s_wait_dscnt 0x3
	s_clause 0x1
	global_store_b32 v[9:10], v17, off
	global_store_b32 v[19:20], v18, off
	;; [unrolled: 4-line block ×5, first 2 shown]
	s_and_b32 exec_lo, exec_lo, vcc_lo
	s_cbranch_execz .LBB0_23
; %bb.22:
	ds_load_b32 v2, v5 offset:2344
	s_wait_dscnt 0x0
	global_store_b32 v[0:1], v2, off offset:2600
.LBB0_23:
	s_nop 0
	s_sendmsg sendmsg(MSG_DEALLOC_VGPRS)
	s_endpgm
	.section	.rodata,"a",@progbits
	.p2align	6, 0x0
	.amdhsa_kernel fft_rtc_back_len650_factors_10_5_13_wgs_195_tpt_65_half_op_CI_CI_unitstride_sbrr_R2C_dirReg
		.amdhsa_group_segment_fixed_size 0
		.amdhsa_private_segment_fixed_size 0
		.amdhsa_kernarg_size 104
		.amdhsa_user_sgpr_count 2
		.amdhsa_user_sgpr_dispatch_ptr 0
		.amdhsa_user_sgpr_queue_ptr 0
		.amdhsa_user_sgpr_kernarg_segment_ptr 1
		.amdhsa_user_sgpr_dispatch_id 0
		.amdhsa_user_sgpr_private_segment_size 0
		.amdhsa_wavefront_size32 1
		.amdhsa_uses_dynamic_stack 0
		.amdhsa_enable_private_segment 0
		.amdhsa_system_sgpr_workgroup_id_x 1
		.amdhsa_system_sgpr_workgroup_id_y 0
		.amdhsa_system_sgpr_workgroup_id_z 0
		.amdhsa_system_sgpr_workgroup_info 0
		.amdhsa_system_vgpr_workitem_id 0
		.amdhsa_next_free_vgpr 99
		.amdhsa_next_free_sgpr 39
		.amdhsa_reserve_vcc 1
		.amdhsa_float_round_mode_32 0
		.amdhsa_float_round_mode_16_64 0
		.amdhsa_float_denorm_mode_32 3
		.amdhsa_float_denorm_mode_16_64 3
		.amdhsa_fp16_overflow 0
		.amdhsa_workgroup_processor_mode 1
		.amdhsa_memory_ordered 1
		.amdhsa_forward_progress 0
		.amdhsa_round_robin_scheduling 0
		.amdhsa_exception_fp_ieee_invalid_op 0
		.amdhsa_exception_fp_denorm_src 0
		.amdhsa_exception_fp_ieee_div_zero 0
		.amdhsa_exception_fp_ieee_overflow 0
		.amdhsa_exception_fp_ieee_underflow 0
		.amdhsa_exception_fp_ieee_inexact 0
		.amdhsa_exception_int_div_zero 0
	.end_amdhsa_kernel
	.text
.Lfunc_end0:
	.size	fft_rtc_back_len650_factors_10_5_13_wgs_195_tpt_65_half_op_CI_CI_unitstride_sbrr_R2C_dirReg, .Lfunc_end0-fft_rtc_back_len650_factors_10_5_13_wgs_195_tpt_65_half_op_CI_CI_unitstride_sbrr_R2C_dirReg
                                        ; -- End function
	.section	.AMDGPU.csdata,"",@progbits
; Kernel info:
; codeLenInByte = 9852
; NumSgprs: 41
; NumVgprs: 99
; ScratchSize: 0
; MemoryBound: 0
; FloatMode: 240
; IeeeMode: 1
; LDSByteSize: 0 bytes/workgroup (compile time only)
; SGPRBlocks: 5
; VGPRBlocks: 12
; NumSGPRsForWavesPerEU: 41
; NumVGPRsForWavesPerEU: 99
; Occupancy: 12
; WaveLimiterHint : 1
; COMPUTE_PGM_RSRC2:SCRATCH_EN: 0
; COMPUTE_PGM_RSRC2:USER_SGPR: 2
; COMPUTE_PGM_RSRC2:TRAP_HANDLER: 0
; COMPUTE_PGM_RSRC2:TGID_X_EN: 1
; COMPUTE_PGM_RSRC2:TGID_Y_EN: 0
; COMPUTE_PGM_RSRC2:TGID_Z_EN: 0
; COMPUTE_PGM_RSRC2:TIDIG_COMP_CNT: 0
	.text
	.p2alignl 7, 3214868480
	.fill 96, 4, 3214868480
	.type	__hip_cuid_d5b6f820f8b1e972,@object ; @__hip_cuid_d5b6f820f8b1e972
	.section	.bss,"aw",@nobits
	.globl	__hip_cuid_d5b6f820f8b1e972
__hip_cuid_d5b6f820f8b1e972:
	.byte	0                               ; 0x0
	.size	__hip_cuid_d5b6f820f8b1e972, 1

	.ident	"AMD clang version 19.0.0git (https://github.com/RadeonOpenCompute/llvm-project roc-6.4.0 25133 c7fe45cf4b819c5991fe208aaa96edf142730f1d)"
	.section	".note.GNU-stack","",@progbits
	.addrsig
	.addrsig_sym __hip_cuid_d5b6f820f8b1e972
	.amdgpu_metadata
---
amdhsa.kernels:
  - .args:
      - .actual_access:  read_only
        .address_space:  global
        .offset:         0
        .size:           8
        .value_kind:     global_buffer
      - .offset:         8
        .size:           8
        .value_kind:     by_value
      - .actual_access:  read_only
        .address_space:  global
        .offset:         16
        .size:           8
        .value_kind:     global_buffer
      - .actual_access:  read_only
        .address_space:  global
        .offset:         24
        .size:           8
        .value_kind:     global_buffer
      - .actual_access:  read_only
        .address_space:  global
        .offset:         32
        .size:           8
        .value_kind:     global_buffer
      - .offset:         40
        .size:           8
        .value_kind:     by_value
      - .actual_access:  read_only
        .address_space:  global
        .offset:         48
        .size:           8
        .value_kind:     global_buffer
      - .actual_access:  read_only
        .address_space:  global
        .offset:         56
        .size:           8
        .value_kind:     global_buffer
      - .offset:         64
        .size:           4
        .value_kind:     by_value
      - .actual_access:  read_only
        .address_space:  global
        .offset:         72
        .size:           8
        .value_kind:     global_buffer
      - .actual_access:  read_only
        .address_space:  global
        .offset:         80
        .size:           8
        .value_kind:     global_buffer
      - .actual_access:  read_only
        .address_space:  global
        .offset:         88
        .size:           8
        .value_kind:     global_buffer
      - .actual_access:  write_only
        .address_space:  global
        .offset:         96
        .size:           8
        .value_kind:     global_buffer
    .group_segment_fixed_size: 0
    .kernarg_segment_align: 8
    .kernarg_segment_size: 104
    .language:       OpenCL C
    .language_version:
      - 2
      - 0
    .max_flat_workgroup_size: 195
    .name:           fft_rtc_back_len650_factors_10_5_13_wgs_195_tpt_65_half_op_CI_CI_unitstride_sbrr_R2C_dirReg
    .private_segment_fixed_size: 0
    .sgpr_count:     41
    .sgpr_spill_count: 0
    .symbol:         fft_rtc_back_len650_factors_10_5_13_wgs_195_tpt_65_half_op_CI_CI_unitstride_sbrr_R2C_dirReg.kd
    .uniform_work_group_size: 1
    .uses_dynamic_stack: false
    .vgpr_count:     99
    .vgpr_spill_count: 0
    .wavefront_size: 32
    .workgroup_processor_mode: 1
amdhsa.target:   amdgcn-amd-amdhsa--gfx1201
amdhsa.version:
  - 1
  - 2
...

	.end_amdgpu_metadata
